;; amdgpu-corpus repo=triton-lang/triton kind=triton arch=gfx1201 opt=O3 lang=triton
	.amdgcn_target "amdgcn-amd-amdhsa--gfx1201"
	.amdhsa_code_object_version 5
	.text
	.globl	_dropout                        ; -- Begin function _dropout
	.p2align	8
	.type	_dropout,@function
_dropout:                               ; @_dropout
.Lfunc_begin0:
	.cfi_sections .debug_frame
	.cfi_startproc
; %bb.0:
	.file	1 "/root/src/amdgpu-assembly/repos/triton-lang__triton-aot" "dropout_mask.py"
	.loc	1 18 41 prologue_end            ; dropout_mask.py:18:41
	s_bfe_u32 s4, ttmp8, 0x50019
	v_and_b32_e32 v0, 31, v0
	s_lshl_b32 s4, s4, 5
	s_clause 0x1
	s_load_b64 s[2:3], s[0:1], 0x0
	s_load_b32 s9, s[0:1], 0x18
	.loc	1 17 24                         ; dropout_mask.py:17:24
	s_lshl_b32 s5, ttmp9, 10
	.loc	1 18 41                         ; dropout_mask.py:18:41
	s_and_b32 s4, s4, 0x60
	v_mov_b32_e32 v10, 0
	.loc	1 18 28 is_stmt 0               ; dropout_mask.py:18:28
	v_or3_b32 v2, s4, v0, s5
	v_mov_b32_e32 v12, 0
	s_delay_alu instid0(VALU_DEP_2) | instskip(NEXT) | instid1(VALU_DEP_1)
	.loc	1 21 24 is_stmt 1               ; dropout_mask.py:21:24
	v_ashrrev_i32_e32 v3, 31, v2
	v_lshlrev_b64_e32 v[0:1], 2, v[2:3]
	.loc	1 19 21                         ; dropout_mask.py:19:21
	s_wait_kmcnt 0x0
	v_cmp_gt_i32_e32 vcc_lo, s9, v2
	s_delay_alu instid0(VALU_DEP_2) | instskip(SKIP_1) | instid1(VALU_DEP_3)
	.loc	1 21 24                         ; dropout_mask.py:21:24
	v_add_co_u32 v3, s2, s2, v0
	s_wait_alu depctr_va_sdst(0)
	v_add_co_ci_u32_e64 v4, null, s3, v1, s2
	.loc	1 21 16 is_stmt 0               ; dropout_mask.py:21:16
	s_and_saveexec_b32 s2, vcc_lo
	s_cbranch_execz .LBB0_2
; %bb.1:
	global_load_b32 v12, v[3:4], off
.LBB0_2:
	.loc	1 0 16                          ; dropout_mask.py:0:16
	s_wait_alu depctr_sa_sdst(0)
	s_or_b32 exec_lo, exec_lo, s2
	.loc	1 18 28 is_stmt 1               ; dropout_mask.py:18:28
	v_or_b32_e32 v5, 0x80, v2
	s_delay_alu instid0(VALU_DEP_1)
	.loc	1 19 21                         ; dropout_mask.py:19:21
	v_cmp_gt_i32_e64 s8, s9, v5
	.loc	1 21 16                         ; dropout_mask.py:21:16
	s_and_saveexec_b32 s2, s8
	s_cbranch_execz .LBB0_4
; %bb.3:
	global_load_b32 v10, v[3:4], off offset:512
.LBB0_4:
	.loc	1 0 16 is_stmt 0                ; dropout_mask.py:0:16
	s_wait_alu depctr_sa_sdst(0)
	s_or_b32 exec_lo, exec_lo, s2
	.loc	1 18 28 is_stmt 1               ; dropout_mask.py:18:28
	v_or_b32_e32 v5, 0x100, v2
	v_dual_mov_b32 v8, 0 :: v_dual_mov_b32 v11, 0
	s_delay_alu instid0(VALU_DEP_2)
	.loc	1 19 21                         ; dropout_mask.py:19:21
	v_cmp_gt_i32_e64 s7, s9, v5
	.loc	1 21 16                         ; dropout_mask.py:21:16
	s_and_saveexec_b32 s2, s7
	s_cbranch_execz .LBB0_6
; %bb.5:
	global_load_b32 v11, v[3:4], off offset:1024
.LBB0_6:
	.loc	1 0 16 is_stmt 0                ; dropout_mask.py:0:16
	s_wait_alu depctr_sa_sdst(0)
	s_or_b32 exec_lo, exec_lo, s2
	.loc	1 18 28 is_stmt 1               ; dropout_mask.py:18:28
	v_or_b32_e32 v5, 0x180, v2
	s_delay_alu instid0(VALU_DEP_1)
	.loc	1 19 21                         ; dropout_mask.py:19:21
	v_cmp_gt_i32_e64 s6, s9, v5
	.loc	1 21 16                         ; dropout_mask.py:21:16
	s_and_saveexec_b32 s2, s6
	s_cbranch_execz .LBB0_8
; %bb.7:
	global_load_b32 v8, v[3:4], off offset:1536
.LBB0_8:
	.loc	1 0 16 is_stmt 0                ; dropout_mask.py:0:16
	s_wait_alu depctr_sa_sdst(0)
	s_or_b32 exec_lo, exec_lo, s2
	.loc	1 18 28 is_stmt 1               ; dropout_mask.py:18:28
	v_or_b32_e32 v5, 0x200, v2
	v_dual_mov_b32 v6, 0 :: v_dual_mov_b32 v9, 0
	s_delay_alu instid0(VALU_DEP_2)
	.loc	1 19 21                         ; dropout_mask.py:19:21
	v_cmp_gt_i32_e64 s5, s9, v5
	.loc	1 21 16                         ; dropout_mask.py:21:16
	s_and_saveexec_b32 s2, s5
	s_cbranch_execz .LBB0_10
; %bb.9:
	global_load_b32 v9, v[3:4], off offset:2048
.LBB0_10:
	.loc	1 0 16 is_stmt 0                ; dropout_mask.py:0:16
	s_wait_alu depctr_sa_sdst(0)
	s_or_b32 exec_lo, exec_lo, s2
	.loc	1 18 28 is_stmt 1               ; dropout_mask.py:18:28
	v_or_b32_e32 v5, 0x280, v2
	s_delay_alu instid0(VALU_DEP_1)
	.loc	1 19 21                         ; dropout_mask.py:19:21
	v_cmp_gt_i32_e64 s4, s9, v5
	.loc	1 21 16                         ; dropout_mask.py:21:16
	s_and_saveexec_b32 s2, s4
	s_cbranch_execz .LBB0_12
; %bb.11:
	global_load_b32 v6, v[3:4], off offset:2560
.LBB0_12:
	.loc	1 0 16 is_stmt 0                ; dropout_mask.py:0:16
	s_wait_alu depctr_sa_sdst(0)
	s_or_b32 exec_lo, exec_lo, s2
	s_load_b64 s[10:11], s[0:1], 0x8
	.loc	1 18 28 is_stmt 1               ; dropout_mask.py:18:28
	v_or_b32_e32 v5, 0x300, v2
	v_mov_b32_e32 v7, 0
	s_delay_alu instid0(VALU_DEP_2)
	.loc	1 19 21                         ; dropout_mask.py:19:21
	v_cmp_gt_i32_e64 s3, s9, v5
	v_mov_b32_e32 v5, 0
	.loc	1 21 16                         ; dropout_mask.py:21:16
	s_and_saveexec_b32 s2, s3
	s_cbranch_execz .LBB0_14
; %bb.13:
	global_load_b32 v7, v[3:4], off offset:3072
.LBB0_14:
	.loc	1 0 16 is_stmt 0                ; dropout_mask.py:0:16
	s_wait_alu depctr_sa_sdst(0)
	s_or_b32 exec_lo, exec_lo, s2
	.loc	1 18 28 is_stmt 1               ; dropout_mask.py:18:28
	v_or_b32_e32 v2, 0x380, v2
	s_delay_alu instid0(VALU_DEP_1)
	.loc	1 19 21                         ; dropout_mask.py:19:21
	v_cmp_gt_i32_e64 s2, s9, v2
	.loc	1 21 16                         ; dropout_mask.py:21:16
	s_and_saveexec_b32 s9, s2
	s_cbranch_execz .LBB0_16
; %bb.15:
	global_load_b32 v5, v[3:4], off offset:3584
.LBB0_16:
	.loc	1 0 16 is_stmt 0                ; dropout_mask.py:0:16
	s_wait_alu depctr_sa_sdst(0)
	s_or_b32 exec_lo, exec_lo, s9
	.loc	1 22 34 is_stmt 1               ; dropout_mask.py:22:34
	s_wait_kmcnt 0x0
	v_add_co_u32 v2, s9, s10, v0
	s_wait_alu depctr_va_sdst(0)
	v_add_co_ci_u32_e64 v3, null, s11, v1, s9
	v_mov_b32_e32 v17, 0
	v_mov_b32_e32 v19, 0
	.loc	1 22 21 is_stmt 0               ; dropout_mask.py:22:21
	s_and_saveexec_b32 s9, vcc_lo
	s_cbranch_execz .LBB0_18
; %bb.17:
	global_load_b32 v19, v[2:3], off
.LBB0_18:
	.loc	1 0 21                          ; dropout_mask.py:0:21
	s_wait_alu depctr_sa_sdst(0)
	s_or_b32 exec_lo, exec_lo, s9
	.loc	1 22 21                         ; dropout_mask.py:22:21
	s_and_saveexec_b32 s9, s8
	s_cbranch_execz .LBB0_20
; %bb.19:
	global_load_b32 v17, v[2:3], off offset:512
.LBB0_20:
	.loc	1 0 21                          ; dropout_mask.py:0:21
	s_wait_alu depctr_sa_sdst(0)
	s_or_b32 exec_lo, exec_lo, s9
	v_dual_mov_b32 v15, 0 :: v_dual_mov_b32 v18, 0
	.loc	1 22 21                         ; dropout_mask.py:22:21
	s_and_saveexec_b32 s9, s7
	s_cbranch_execz .LBB0_22
; %bb.21:
	global_load_b32 v18, v[2:3], off offset:1024
.LBB0_22:
	.loc	1 0 21                          ; dropout_mask.py:0:21
	s_wait_alu depctr_sa_sdst(0)
	s_or_b32 exec_lo, exec_lo, s9
	.loc	1 22 21                         ; dropout_mask.py:22:21
	s_and_saveexec_b32 s9, s6
	s_cbranch_execz .LBB0_24
; %bb.23:
	global_load_b32 v15, v[2:3], off offset:1536
.LBB0_24:
	.loc	1 0 21                          ; dropout_mask.py:0:21
	s_wait_alu depctr_sa_sdst(0)
	s_or_b32 exec_lo, exec_lo, s9
	v_dual_mov_b32 v13, 0 :: v_dual_mov_b32 v16, 0
	.loc	1 22 21                         ; dropout_mask.py:22:21
	s_and_saveexec_b32 s9, s5
	s_cbranch_execz .LBB0_26
; %bb.25:
	global_load_b32 v16, v[2:3], off offset:2048
.LBB0_26:
	.loc	1 0 21                          ; dropout_mask.py:0:21
	s_wait_alu depctr_sa_sdst(0)
	s_or_b32 exec_lo, exec_lo, s9
	.loc	1 22 21                         ; dropout_mask.py:22:21
	s_and_saveexec_b32 s9, s4
	s_cbranch_execz .LBB0_28
; %bb.27:
	global_load_b32 v13, v[2:3], off offset:2560
.LBB0_28:
	.loc	1 0 21                          ; dropout_mask.py:0:21
	s_wait_alu depctr_sa_sdst(0)
	s_or_b32 exec_lo, exec_lo, s9
	s_load_b64 s[10:11], s[0:1], 0x10
	v_mov_b32_e32 v4, 0
	v_mov_b32_e32 v14, 0
	.loc	1 22 21                         ; dropout_mask.py:22:21
	s_and_saveexec_b32 s9, s3
	s_cbranch_execz .LBB0_30
; %bb.29:
	global_load_b32 v14, v[2:3], off offset:3072
.LBB0_30:
	.loc	1 0 21                          ; dropout_mask.py:0:21
	s_wait_alu depctr_sa_sdst(0)
	s_or_b32 exec_lo, exec_lo, s9
	s_load_b32 s1, s[0:1], 0x1c
	.loc	1 22 21                         ; dropout_mask.py:22:21
	s_and_saveexec_b32 s0, s2
	s_cbranch_execz .LBB0_32
; %bb.31:
	global_load_b32 v4, v[2:3], off offset:3584
.LBB0_32:
	.loc	1 0 21                          ; dropout_mask.py:0:21
	s_or_b32 exec_lo, exec_lo, s0
	.loc	1 26 26 is_stmt 1               ; dropout_mask.py:26:26
	s_wait_kmcnt 0x0
	v_add_co_u32 v0, s0, s10, v0
	s_delay_alu instid0(VALU_DEP_1)
	v_add_co_ci_u32_e64 v1, null, s11, v1, s0
	.loc	1 24 39                         ; dropout_mask.py:24:39
	s_sub_f32 s0, 1.0, s1
	.loc	1 26 35                         ; dropout_mask.py:26:35
	s_and_saveexec_b32 s1, vcc_lo
	s_cbranch_execnz .LBB0_41
; %bb.33:
	.loc	1 0 35 is_stmt 0                ; dropout_mask.py:0:35
	s_wait_alu depctr_sa_sdst(0)
	s_or_b32 exec_lo, exec_lo, s1
	.loc	1 26 35                         ; dropout_mask.py:26:35
	s_and_saveexec_b32 s1, s8
	s_cbranch_execnz .LBB0_42
.LBB0_34:
	.loc	1 0 35                          ; dropout_mask.py:0:35
	s_wait_alu depctr_sa_sdst(0)
	s_or_b32 exec_lo, exec_lo, s1
	.loc	1 26 35                         ; dropout_mask.py:26:35
	s_and_saveexec_b32 s1, s7
	s_cbranch_execnz .LBB0_43
.LBB0_35:
	.loc	1 0 35                          ; dropout_mask.py:0:35
	s_wait_alu depctr_sa_sdst(0)
	s_or_b32 exec_lo, exec_lo, s1
	.loc	1 26 35                         ; dropout_mask.py:26:35
	s_and_saveexec_b32 s1, s6
	s_cbranch_execnz .LBB0_44
.LBB0_36:
	.loc	1 0 35                          ; dropout_mask.py:0:35
	s_wait_alu depctr_sa_sdst(0)
	s_or_b32 exec_lo, exec_lo, s1
	.loc	1 26 35                         ; dropout_mask.py:26:35
	s_and_saveexec_b32 s1, s5
	s_cbranch_execnz .LBB0_45
.LBB0_37:
	.loc	1 0 35                          ; dropout_mask.py:0:35
	s_wait_alu depctr_sa_sdst(0)
	s_or_b32 exec_lo, exec_lo, s1
	.loc	1 26 35                         ; dropout_mask.py:26:35
	s_and_saveexec_b32 s1, s4
	s_cbranch_execnz .LBB0_46
.LBB0_38:
	.loc	1 0 35                          ; dropout_mask.py:0:35
	s_wait_alu depctr_sa_sdst(0)
	s_or_b32 exec_lo, exec_lo, s1
	.loc	1 26 35                         ; dropout_mask.py:26:35
	s_and_saveexec_b32 s1, s3
	s_cbranch_execnz .LBB0_47
.LBB0_39:
	.loc	1 0 35                          ; dropout_mask.py:0:35
	s_wait_alu depctr_sa_sdst(0)
	s_or_b32 exec_lo, exec_lo, s1
	.loc	1 26 35                         ; dropout_mask.py:26:35
	s_and_saveexec_b32 s1, s2
	s_cbranch_execnz .LBB0_48
.LBB0_40:
	.loc	1 26 4                          ; dropout_mask.py:26:4
	s_endpgm
.LBB0_41:
	.loc	1 24 35 is_stmt 1               ; dropout_mask.py:24:35
	s_wait_loadcnt 0x0
	s_wait_alu depctr_sa_sdst(0)
	v_div_scale_f32 v2, null, s0, s0, v12
	s_delay_alu instid0(VALU_DEP_1) | instskip(NEXT) | instid1(TRANS32_DEP_1)
	v_rcp_f32_e32 v3, v2
	v_fma_f32 v20, -v2, v3, 1.0
	s_delay_alu instid0(VALU_DEP_1) | instskip(SKIP_1) | instid1(VALU_DEP_1)
	v_fmac_f32_e32 v3, v20, v3
	v_div_scale_f32 v20, vcc_lo, v12, s0, v12
	v_mul_f32_e32 v21, v20, v3
	s_delay_alu instid0(VALU_DEP_1) | instskip(NEXT) | instid1(VALU_DEP_1)
	v_fma_f32 v22, -v2, v21, v20
	v_fmac_f32_e32 v21, v22, v3
	s_delay_alu instid0(VALU_DEP_1) | instskip(NEXT) | instid1(VALU_DEP_1)
	v_fma_f32 v2, -v2, v21, v20
	v_div_fmas_f32 v2, v2, v3, v21
	.loc	1 24 43 is_stmt 0               ; dropout_mask.py:24:43
	v_cmp_ne_u32_e32 vcc_lo, 0, v19
	s_delay_alu instid0(VALU_DEP_2) | instskip(SKIP_1) | instid1(VALU_DEP_1)
	.loc	1 24 35                         ; dropout_mask.py:24:35
	v_div_fixup_f32 v2, v2, s0, v12
	.loc	1 24 43                         ; dropout_mask.py:24:43
	s_wait_alu depctr_va_vcc(0)
	v_cndmask_b32_e32 v2, 0, v2, vcc_lo
	.loc	1 26 35 is_stmt 1               ; dropout_mask.py:26:35
	global_store_b32 v[0:1], v2, off
	s_or_b32 exec_lo, exec_lo, s1
	s_and_saveexec_b32 s1, s8
	s_cbranch_execz .LBB0_34
.LBB0_42:
	.loc	1 24 35                         ; dropout_mask.py:24:35
	s_wait_loadcnt 0x0
	v_div_scale_f32 v2, null, s0, s0, v10
	s_delay_alu instid0(VALU_DEP_1) | instskip(NEXT) | instid1(TRANS32_DEP_1)
	v_rcp_f32_e32 v3, v2
	v_fma_f32 v12, -v2, v3, 1.0
	s_delay_alu instid0(VALU_DEP_1) | instskip(SKIP_1) | instid1(VALU_DEP_1)
	v_fmac_f32_e32 v3, v12, v3
	v_div_scale_f32 v12, vcc_lo, v10, s0, v10
	v_mul_f32_e32 v19, v12, v3
	s_delay_alu instid0(VALU_DEP_1) | instskip(NEXT) | instid1(VALU_DEP_1)
	v_fma_f32 v20, -v2, v19, v12
	v_fmac_f32_e32 v19, v20, v3
	s_delay_alu instid0(VALU_DEP_1) | instskip(SKIP_1) | instid1(VALU_DEP_1)
	v_fma_f32 v2, -v2, v19, v12
	s_wait_alu depctr_va_vcc(0)
	v_div_fmas_f32 v2, v2, v3, v19
	.loc	1 24 43 is_stmt 0               ; dropout_mask.py:24:43
	v_cmp_ne_u32_e32 vcc_lo, 0, v17
	s_delay_alu instid0(VALU_DEP_2) | instskip(SKIP_1) | instid1(VALU_DEP_1)
	.loc	1 24 35                         ; dropout_mask.py:24:35
	v_div_fixup_f32 v2, v2, s0, v10
	.loc	1 24 43                         ; dropout_mask.py:24:43
	s_wait_alu depctr_va_vcc(0)
	v_cndmask_b32_e32 v2, 0, v2, vcc_lo
	.loc	1 26 35 is_stmt 1               ; dropout_mask.py:26:35
	global_store_b32 v[0:1], v2, off offset:512
	s_wait_alu depctr_sa_sdst(0)
	s_or_b32 exec_lo, exec_lo, s1
	s_and_saveexec_b32 s1, s7
	s_cbranch_execz .LBB0_35
.LBB0_43:
	.loc	1 24 35                         ; dropout_mask.py:24:35
	s_wait_loadcnt 0x0
	v_div_scale_f32 v2, null, s0, s0, v11
	s_delay_alu instid0(VALU_DEP_1) | instskip(NEXT) | instid1(TRANS32_DEP_1)
	v_rcp_f32_e32 v3, v2
	v_fma_f32 v10, -v2, v3, 1.0
	s_delay_alu instid0(VALU_DEP_1) | instskip(SKIP_1) | instid1(VALU_DEP_1)
	v_fmac_f32_e32 v3, v10, v3
	v_div_scale_f32 v10, vcc_lo, v11, s0, v11
	v_mul_f32_e32 v12, v10, v3
	s_delay_alu instid0(VALU_DEP_1) | instskip(NEXT) | instid1(VALU_DEP_1)
	v_fma_f32 v17, -v2, v12, v10
	v_fmac_f32_e32 v12, v17, v3
	s_delay_alu instid0(VALU_DEP_1) | instskip(SKIP_1) | instid1(VALU_DEP_1)
	v_fma_f32 v2, -v2, v12, v10
	s_wait_alu depctr_va_vcc(0)
	v_div_fmas_f32 v2, v2, v3, v12
	.loc	1 24 43 is_stmt 0               ; dropout_mask.py:24:43
	v_cmp_ne_u32_e32 vcc_lo, 0, v18
	s_delay_alu instid0(VALU_DEP_2) | instskip(SKIP_1) | instid1(VALU_DEP_1)
	.loc	1 24 35                         ; dropout_mask.py:24:35
	v_div_fixup_f32 v2, v2, s0, v11
	.loc	1 24 43                         ; dropout_mask.py:24:43
	s_wait_alu depctr_va_vcc(0)
	v_cndmask_b32_e32 v2, 0, v2, vcc_lo
	.loc	1 26 35 is_stmt 1               ; dropout_mask.py:26:35
	global_store_b32 v[0:1], v2, off offset:1024
	s_wait_alu depctr_sa_sdst(0)
	s_or_b32 exec_lo, exec_lo, s1
	s_and_saveexec_b32 s1, s6
	s_cbranch_execz .LBB0_36
.LBB0_44:
	.loc	1 24 35                         ; dropout_mask.py:24:35
	s_wait_loadcnt 0x0
	v_div_scale_f32 v2, null, s0, s0, v8
	s_delay_alu instid0(VALU_DEP_1) | instskip(NEXT) | instid1(TRANS32_DEP_1)
	v_rcp_f32_e32 v3, v2
	v_fma_f32 v10, -v2, v3, 1.0
	s_delay_alu instid0(VALU_DEP_1) | instskip(SKIP_1) | instid1(VALU_DEP_1)
	v_fmac_f32_e32 v3, v10, v3
	v_div_scale_f32 v10, vcc_lo, v8, s0, v8
	v_mul_f32_e32 v11, v10, v3
	s_delay_alu instid0(VALU_DEP_1) | instskip(NEXT) | instid1(VALU_DEP_1)
	v_fma_f32 v12, -v2, v11, v10
	v_fmac_f32_e32 v11, v12, v3
	s_delay_alu instid0(VALU_DEP_1) | instskip(SKIP_1) | instid1(VALU_DEP_1)
	v_fma_f32 v2, -v2, v11, v10
	s_wait_alu depctr_va_vcc(0)
	v_div_fmas_f32 v2, v2, v3, v11
	.loc	1 24 43 is_stmt 0               ; dropout_mask.py:24:43
	v_cmp_ne_u32_e32 vcc_lo, 0, v15
	s_delay_alu instid0(VALU_DEP_2) | instskip(SKIP_1) | instid1(VALU_DEP_1)
	.loc	1 24 35                         ; dropout_mask.py:24:35
	v_div_fixup_f32 v2, v2, s0, v8
	.loc	1 24 43                         ; dropout_mask.py:24:43
	s_wait_alu depctr_va_vcc(0)
	v_cndmask_b32_e32 v2, 0, v2, vcc_lo
	.loc	1 26 35 is_stmt 1               ; dropout_mask.py:26:35
	global_store_b32 v[0:1], v2, off offset:1536
	s_wait_alu depctr_sa_sdst(0)
	s_or_b32 exec_lo, exec_lo, s1
	s_and_saveexec_b32 s1, s5
	s_cbranch_execz .LBB0_37
.LBB0_45:
	.loc	1 24 35                         ; dropout_mask.py:24:35
	s_wait_loadcnt 0x0
	v_div_scale_f32 v2, null, s0, s0, v9
	s_delay_alu instid0(VALU_DEP_1) | instskip(NEXT) | instid1(TRANS32_DEP_1)
	v_rcp_f32_e32 v3, v2
	v_fma_f32 v8, -v2, v3, 1.0
	s_delay_alu instid0(VALU_DEP_1) | instskip(SKIP_1) | instid1(VALU_DEP_1)
	v_fmac_f32_e32 v3, v8, v3
	v_div_scale_f32 v8, vcc_lo, v9, s0, v9
	v_mul_f32_e32 v10, v8, v3
	s_delay_alu instid0(VALU_DEP_1) | instskip(NEXT) | instid1(VALU_DEP_1)
	v_fma_f32 v11, -v2, v10, v8
	v_fmac_f32_e32 v10, v11, v3
	s_delay_alu instid0(VALU_DEP_1) | instskip(SKIP_1) | instid1(VALU_DEP_1)
	v_fma_f32 v2, -v2, v10, v8
	s_wait_alu depctr_va_vcc(0)
	v_div_fmas_f32 v2, v2, v3, v10
	.loc	1 24 43 is_stmt 0               ; dropout_mask.py:24:43
	v_cmp_ne_u32_e32 vcc_lo, 0, v16
	s_delay_alu instid0(VALU_DEP_2) | instskip(SKIP_1) | instid1(VALU_DEP_1)
	.loc	1 24 35                         ; dropout_mask.py:24:35
	v_div_fixup_f32 v2, v2, s0, v9
	.loc	1 24 43                         ; dropout_mask.py:24:43
	s_wait_alu depctr_va_vcc(0)
	v_cndmask_b32_e32 v2, 0, v2, vcc_lo
	.loc	1 26 35 is_stmt 1               ; dropout_mask.py:26:35
	global_store_b32 v[0:1], v2, off offset:2048
	s_wait_alu depctr_sa_sdst(0)
	s_or_b32 exec_lo, exec_lo, s1
	s_and_saveexec_b32 s1, s4
	s_cbranch_execz .LBB0_38
.LBB0_46:
	.loc	1 24 35                         ; dropout_mask.py:24:35
	s_wait_loadcnt 0x0
	v_div_scale_f32 v2, null, s0, s0, v6
	s_delay_alu instid0(VALU_DEP_1) | instskip(NEXT) | instid1(TRANS32_DEP_1)
	v_rcp_f32_e32 v3, v2
	v_fma_f32 v8, -v2, v3, 1.0
	s_delay_alu instid0(VALU_DEP_1) | instskip(SKIP_1) | instid1(VALU_DEP_1)
	v_fmac_f32_e32 v3, v8, v3
	v_div_scale_f32 v8, vcc_lo, v6, s0, v6
	v_mul_f32_e32 v9, v8, v3
	s_delay_alu instid0(VALU_DEP_1) | instskip(NEXT) | instid1(VALU_DEP_1)
	v_fma_f32 v10, -v2, v9, v8
	v_fmac_f32_e32 v9, v10, v3
	s_delay_alu instid0(VALU_DEP_1) | instskip(SKIP_1) | instid1(VALU_DEP_1)
	v_fma_f32 v2, -v2, v9, v8
	s_wait_alu depctr_va_vcc(0)
	v_div_fmas_f32 v2, v2, v3, v9
	.loc	1 24 43 is_stmt 0               ; dropout_mask.py:24:43
	v_cmp_ne_u32_e32 vcc_lo, 0, v13
	s_delay_alu instid0(VALU_DEP_2) | instskip(SKIP_1) | instid1(VALU_DEP_1)
	.loc	1 24 35                         ; dropout_mask.py:24:35
	v_div_fixup_f32 v2, v2, s0, v6
	.loc	1 24 43                         ; dropout_mask.py:24:43
	s_wait_alu depctr_va_vcc(0)
	v_cndmask_b32_e32 v2, 0, v2, vcc_lo
	.loc	1 26 35 is_stmt 1               ; dropout_mask.py:26:35
	global_store_b32 v[0:1], v2, off offset:2560
	s_wait_alu depctr_sa_sdst(0)
	s_or_b32 exec_lo, exec_lo, s1
	s_and_saveexec_b32 s1, s3
	s_cbranch_execz .LBB0_39
.LBB0_47:
	.loc	1 24 35                         ; dropout_mask.py:24:35
	s_wait_loadcnt 0x0
	v_div_scale_f32 v2, null, s0, s0, v7
	s_delay_alu instid0(VALU_DEP_1) | instskip(NEXT) | instid1(TRANS32_DEP_1)
	v_rcp_f32_e32 v3, v2
	v_fma_f32 v6, -v2, v3, 1.0
	s_delay_alu instid0(VALU_DEP_1) | instskip(SKIP_1) | instid1(VALU_DEP_1)
	v_fmac_f32_e32 v3, v6, v3
	v_div_scale_f32 v6, vcc_lo, v7, s0, v7
	v_mul_f32_e32 v8, v6, v3
	s_delay_alu instid0(VALU_DEP_1) | instskip(NEXT) | instid1(VALU_DEP_1)
	v_fma_f32 v9, -v2, v8, v6
	v_fmac_f32_e32 v8, v9, v3
	s_delay_alu instid0(VALU_DEP_1) | instskip(SKIP_1) | instid1(VALU_DEP_1)
	v_fma_f32 v2, -v2, v8, v6
	s_wait_alu depctr_va_vcc(0)
	v_div_fmas_f32 v2, v2, v3, v8
	.loc	1 24 43 is_stmt 0               ; dropout_mask.py:24:43
	v_cmp_ne_u32_e32 vcc_lo, 0, v14
	s_delay_alu instid0(VALU_DEP_2) | instskip(SKIP_1) | instid1(VALU_DEP_1)
	.loc	1 24 35                         ; dropout_mask.py:24:35
	v_div_fixup_f32 v2, v2, s0, v7
	.loc	1 24 43                         ; dropout_mask.py:24:43
	s_wait_alu depctr_va_vcc(0)
	v_cndmask_b32_e32 v2, 0, v2, vcc_lo
	.loc	1 26 35 is_stmt 1               ; dropout_mask.py:26:35
	global_store_b32 v[0:1], v2, off offset:3072
	s_wait_alu depctr_sa_sdst(0)
	s_or_b32 exec_lo, exec_lo, s1
	s_and_saveexec_b32 s1, s2
	s_cbranch_execz .LBB0_40
.LBB0_48:
	.loc	1 24 35                         ; dropout_mask.py:24:35
	s_wait_loadcnt 0x0
	v_div_scale_f32 v2, null, s0, s0, v5
	s_delay_alu instid0(VALU_DEP_1) | instskip(NEXT) | instid1(TRANS32_DEP_1)
	v_rcp_f32_e32 v3, v2
	v_fma_f32 v6, -v2, v3, 1.0
	s_delay_alu instid0(VALU_DEP_1) | instskip(SKIP_1) | instid1(VALU_DEP_1)
	v_fmac_f32_e32 v3, v6, v3
	v_div_scale_f32 v6, vcc_lo, v5, s0, v5
	v_mul_f32_e32 v7, v6, v3
	s_delay_alu instid0(VALU_DEP_1) | instskip(NEXT) | instid1(VALU_DEP_1)
	v_fma_f32 v8, -v2, v7, v6
	v_fmac_f32_e32 v7, v8, v3
	s_delay_alu instid0(VALU_DEP_1) | instskip(SKIP_1) | instid1(VALU_DEP_1)
	v_fma_f32 v2, -v2, v7, v6
	s_wait_alu depctr_va_vcc(0)
	v_div_fmas_f32 v2, v2, v3, v7
	.loc	1 24 43 is_stmt 0               ; dropout_mask.py:24:43
	v_cmp_ne_u32_e32 vcc_lo, 0, v4
	s_delay_alu instid0(VALU_DEP_2) | instskip(SKIP_1) | instid1(VALU_DEP_1)
	.loc	1 24 35                         ; dropout_mask.py:24:35
	v_div_fixup_f32 v2, v2, s0, v5
	.loc	1 24 43                         ; dropout_mask.py:24:43
	s_wait_alu depctr_va_vcc(0)
	v_cndmask_b32_e32 v2, 0, v2, vcc_lo
	.loc	1 26 35 is_stmt 1               ; dropout_mask.py:26:35
	global_store_b32 v[0:1], v2, off offset:3584
	.loc	1 26 4 is_stmt 0                ; dropout_mask.py:26:4
	s_endpgm
.Ltmp0:
	.section	.rodata,"a",@progbits
	.p2align	6, 0x0
	.amdhsa_kernel _dropout
		.amdhsa_group_segment_fixed_size 0
		.amdhsa_private_segment_fixed_size 0
		.amdhsa_kernarg_size 48
		.amdhsa_user_sgpr_count 2
		.amdhsa_user_sgpr_dispatch_ptr 0
		.amdhsa_user_sgpr_queue_ptr 0
		.amdhsa_user_sgpr_kernarg_segment_ptr 1
		.amdhsa_user_sgpr_dispatch_id 0
		.amdhsa_user_sgpr_private_segment_size 0
		.amdhsa_wavefront_size32 1
		.amdhsa_uses_dynamic_stack 0
		.amdhsa_enable_private_segment 0
		.amdhsa_system_sgpr_workgroup_id_x 1
		.amdhsa_system_sgpr_workgroup_id_y 1
		.amdhsa_system_sgpr_workgroup_id_z 1
		.amdhsa_system_sgpr_workgroup_info 0
		.amdhsa_system_vgpr_workitem_id 0
		.amdhsa_next_free_vgpr 23
		.amdhsa_next_free_sgpr 12
		.amdhsa_reserve_vcc 1
		.amdhsa_float_round_mode_32 0
		.amdhsa_float_round_mode_16_64 0
		.amdhsa_float_denorm_mode_32 3
		.amdhsa_float_denorm_mode_16_64 3
		.amdhsa_fp16_overflow 0
		.amdhsa_workgroup_processor_mode 1
		.amdhsa_memory_ordered 1
		.amdhsa_forward_progress 1
		.amdhsa_inst_pref_size 17
		.amdhsa_round_robin_scheduling 0
		.amdhsa_exception_fp_ieee_invalid_op 0
		.amdhsa_exception_fp_denorm_src 0
		.amdhsa_exception_fp_ieee_div_zero 0
		.amdhsa_exception_fp_ieee_overflow 0
		.amdhsa_exception_fp_ieee_underflow 0
		.amdhsa_exception_fp_ieee_inexact 0
		.amdhsa_exception_int_div_zero 0
	.end_amdhsa_kernel
	.text
.Lfunc_end0:
	.size	_dropout, .Lfunc_end0-_dropout
	.cfi_endproc
                                        ; -- End function
	.set _dropout.num_vgpr, 23
	.set _dropout.num_agpr, 0
	.set _dropout.numbered_sgpr, 12
	.set _dropout.num_named_barrier, 0
	.set _dropout.private_seg_size, 0
	.set _dropout.uses_vcc, 1
	.set _dropout.uses_flat_scratch, 0
	.set _dropout.has_dyn_sized_stack, 0
	.set _dropout.has_recursion, 0
	.set _dropout.has_indirect_call, 0
	.section	.AMDGPU.csdata,"",@progbits
; Kernel info:
; codeLenInByte = 2052
; TotalNumSgprs: 14
; NumVgprs: 23
; ScratchSize: 0
; MemoryBound: 0
; FloatMode: 240
; IeeeMode: 1
; LDSByteSize: 0 bytes/workgroup (compile time only)
; SGPRBlocks: 0
; VGPRBlocks: 2
; NumSGPRsForWavesPerEU: 14
; NumVGPRsForWavesPerEU: 23
; Occupancy: 16
; WaveLimiterHint : 0
; COMPUTE_PGM_RSRC2:SCRATCH_EN: 0
; COMPUTE_PGM_RSRC2:USER_SGPR: 2
; COMPUTE_PGM_RSRC2:TRAP_HANDLER: 0
; COMPUTE_PGM_RSRC2:TGID_X_EN: 1
; COMPUTE_PGM_RSRC2:TGID_Y_EN: 1
; COMPUTE_PGM_RSRC2:TGID_Z_EN: 1
; COMPUTE_PGM_RSRC2:TIDIG_COMP_CNT: 0
	.text
	.p2alignl 7, 3214868480
	.fill 96, 4, 3214868480
	.section	.AMDGPU.gpr_maximums,"",@progbits
	.set amdgpu.max_num_vgpr, 0
	.set amdgpu.max_num_agpr, 0
	.set amdgpu.max_num_sgpr, 0
	.set amdgpu.max_num_named_barrier, 0
	.text
	.section	.debug_abbrev,"",@progbits
	.byte	1                               ; Abbreviation Code
	.byte	17                              ; DW_TAG_compile_unit
	.byte	0                               ; DW_CHILDREN_no
	.byte	37                              ; DW_AT_producer
	.byte	14                              ; DW_FORM_strp
	.byte	19                              ; DW_AT_language
	.byte	5                               ; DW_FORM_data2
	.byte	3                               ; DW_AT_name
	.byte	14                              ; DW_FORM_strp
	.byte	16                              ; DW_AT_stmt_list
	.byte	23                              ; DW_FORM_sec_offset
	.byte	27                              ; DW_AT_comp_dir
	.byte	14                              ; DW_FORM_strp
	.byte	17                              ; DW_AT_low_pc
	.byte	1                               ; DW_FORM_addr
	.byte	18                              ; DW_AT_high_pc
	.byte	6                               ; DW_FORM_data4
	.byte	0                               ; EOM(1)
	.byte	0                               ; EOM(2)
	;; [unrolled: 1-line block ×3, first 2 shown]
	.section	.debug_info,"",@progbits
.Lcu_begin0:
	.long	.Ldebug_info_end0-.Ldebug_info_start0 ; Length of Unit
.Ldebug_info_start0:
	.short	4                               ; DWARF version number
	.long	.debug_abbrev                   ; Offset Into Abbrev. Section
	.byte	8                               ; Address Size (in bytes)
	.byte	1                               ; Abbrev [1] 0xb:0x1f DW_TAG_compile_unit
	.long	.Linfo_string0                  ; DW_AT_producer
	.short	2                               ; DW_AT_language
	.long	.Linfo_string1                  ; DW_AT_name
	.long	.Lline_table_start0             ; DW_AT_stmt_list
	.long	.Linfo_string2                  ; DW_AT_comp_dir
	.quad	.Lfunc_begin0                   ; DW_AT_low_pc
	.long	.Lfunc_end0-.Lfunc_begin0       ; DW_AT_high_pc
.Ldebug_info_end0:
	.section	.debug_str,"MS",@progbits,1
.Linfo_string0:
	.asciz	"triton"                        ; string offset=0
.Linfo_string1:
	.asciz	"dropout_mask.py"               ; string offset=7
.Linfo_string2:
	.asciz	"/root/src/amdgpu-assembly/repos/triton-lang__triton-aot" ; string offset=23
	.section	".note.GNU-stack","",@progbits
	.amdgpu_metadata
---
amdhsa.kernels:
  - .args:
      - .address_space:  global
        .offset:         0
        .size:           8
        .value_kind:     global_buffer
      - .address_space:  global
        .offset:         8
        .size:           8
        .value_kind:     global_buffer
      - .address_space:  global
        .offset:         16
        .size:           8
        .value_kind:     global_buffer
      - .offset:         24
        .size:           4
        .value_kind:     by_value
      - .offset:         28
        .size:           4
        .value_kind:     by_value
      - .address_space:  global
        .offset:         32
        .size:           8
        .value_kind:     global_buffer
      - .address_space:  global
        .offset:         40
        .size:           8
        .value_kind:     global_buffer
    .group_segment_fixed_size: 0
    .kernarg_segment_align: 8
    .kernarg_segment_size: 48
    .max_flat_workgroup_size: 128
    .name:           _dropout
    .private_segment_fixed_size: 0
    .sgpr_count:     14
    .sgpr_spill_count: 0
    .symbol:         _dropout.kd
    .uniform_work_group_size: 1
    .uses_dynamic_stack: false
    .vgpr_count:     23
    .vgpr_spill_count: 0
    .wavefront_size: 32
    .workgroup_processor_mode: 1
amdhsa.target:   amdgcn-amd-amdhsa--gfx1201
amdhsa.version:
  - 1
  - 2
...

	.end_amdgpu_metadata
	.section	.debug_line,"",@progbits
.Lline_table_start0:
